;; amdgpu-corpus repo=ROCm/rocFFT kind=compiled arch=gfx1030 opt=O3
	.text
	.amdgcn_target "amdgcn-amd-amdhsa--gfx1030"
	.amdhsa_code_object_version 6
	.protected	fft_rtc_back_len78_factors_6_13_wgs_247_tpt_13_dp_ip_CI_unitstride_sbrr_R2C_dirReg ; -- Begin function fft_rtc_back_len78_factors_6_13_wgs_247_tpt_13_dp_ip_CI_unitstride_sbrr_R2C_dirReg
	.globl	fft_rtc_back_len78_factors_6_13_wgs_247_tpt_13_dp_ip_CI_unitstride_sbrr_R2C_dirReg
	.p2align	8
	.type	fft_rtc_back_len78_factors_6_13_wgs_247_tpt_13_dp_ip_CI_unitstride_sbrr_R2C_dirReg,@function
fft_rtc_back_len78_factors_6_13_wgs_247_tpt_13_dp_ip_CI_unitstride_sbrr_R2C_dirReg: ; @fft_rtc_back_len78_factors_6_13_wgs_247_tpt_13_dp_ip_CI_unitstride_sbrr_R2C_dirReg
; %bb.0:
	s_load_dwordx4 s[8:11], s[4:5], 0x0
	v_mul_u32_u24_e32 v1, 0x13b2, v0
	s_clause 0x1
	s_load_dwordx2 s[2:3], s[4:5], 0x50
	s_load_dwordx2 s[12:13], s[4:5], 0x18
	v_mov_b32_e32 v5, 0
	v_mov_b32_e32 v3, 0
	;; [unrolled: 1-line block ×3, first 2 shown]
	v_lshrrev_b32_e32 v1, 16, v1
	v_mad_u64_u32 v[1:2], null, s6, 19, v[1:2]
	v_mov_b32_e32 v2, v5
	v_mov_b32_e32 v10, v2
	;; [unrolled: 1-line block ×3, first 2 shown]
	s_waitcnt lgkmcnt(0)
	v_cmp_lt_u64_e64 s0, s[10:11], 2
	s_and_b32 vcc_lo, exec_lo, s0
	s_cbranch_vccnz .LBB0_8
; %bb.1:
	s_load_dwordx2 s[0:1], s[4:5], 0x10
	v_mov_b32_e32 v3, 0
	v_mov_b32_e32 v8, v2
	s_add_u32 s6, s12, 8
	v_mov_b32_e32 v4, 0
	v_mov_b32_e32 v7, v1
	s_addc_u32 s7, s13, 0
	s_mov_b64 s[16:17], 1
	s_waitcnt lgkmcnt(0)
	s_add_u32 s14, s0, 8
	s_addc_u32 s15, s1, 0
.LBB0_2:                                ; =>This Inner Loop Header: Depth=1
	s_load_dwordx2 s[18:19], s[14:15], 0x0
                                        ; implicit-def: $vgpr9_vgpr10
	s_mov_b32 s0, exec_lo
	s_waitcnt lgkmcnt(0)
	v_or_b32_e32 v6, s19, v8
	v_cmpx_ne_u64_e32 0, v[5:6]
	s_xor_b32 s1, exec_lo, s0
	s_cbranch_execz .LBB0_4
; %bb.3:                                ;   in Loop: Header=BB0_2 Depth=1
	v_cvt_f32_u32_e32 v2, s18
	v_cvt_f32_u32_e32 v6, s19
	s_sub_u32 s0, 0, s18
	s_subb_u32 s20, 0, s19
	v_fmac_f32_e32 v2, 0x4f800000, v6
	v_rcp_f32_e32 v2, v2
	v_mul_f32_e32 v2, 0x5f7ffffc, v2
	v_mul_f32_e32 v6, 0x2f800000, v2
	v_trunc_f32_e32 v6, v6
	v_fmac_f32_e32 v2, 0xcf800000, v6
	v_cvt_u32_f32_e32 v6, v6
	v_cvt_u32_f32_e32 v2, v2
	v_mul_lo_u32 v9, s0, v6
	v_mul_hi_u32 v10, s0, v2
	v_mul_lo_u32 v11, s20, v2
	v_add_nc_u32_e32 v9, v10, v9
	v_mul_lo_u32 v10, s0, v2
	v_add_nc_u32_e32 v9, v9, v11
	v_mul_hi_u32 v11, v2, v10
	v_mul_lo_u32 v12, v2, v9
	v_mul_hi_u32 v13, v2, v9
	v_mul_hi_u32 v14, v6, v10
	v_mul_lo_u32 v10, v6, v10
	v_mul_hi_u32 v15, v6, v9
	v_mul_lo_u32 v9, v6, v9
	v_add_co_u32 v11, vcc_lo, v11, v12
	v_add_co_ci_u32_e32 v12, vcc_lo, 0, v13, vcc_lo
	v_add_co_u32 v10, vcc_lo, v11, v10
	v_add_co_ci_u32_e32 v10, vcc_lo, v12, v14, vcc_lo
	v_add_co_ci_u32_e32 v11, vcc_lo, 0, v15, vcc_lo
	v_add_co_u32 v9, vcc_lo, v10, v9
	v_add_co_ci_u32_e32 v10, vcc_lo, 0, v11, vcc_lo
	v_add_co_u32 v2, vcc_lo, v2, v9
	v_add_co_ci_u32_e32 v6, vcc_lo, v6, v10, vcc_lo
	v_mul_hi_u32 v9, s0, v2
	v_mul_lo_u32 v11, s20, v2
	v_mul_lo_u32 v10, s0, v6
	v_add_nc_u32_e32 v9, v9, v10
	v_mul_lo_u32 v10, s0, v2
	v_add_nc_u32_e32 v9, v9, v11
	v_mul_hi_u32 v11, v2, v10
	v_mul_lo_u32 v12, v2, v9
	v_mul_hi_u32 v13, v2, v9
	v_mul_hi_u32 v14, v6, v10
	v_mul_lo_u32 v10, v6, v10
	v_mul_hi_u32 v15, v6, v9
	v_mul_lo_u32 v9, v6, v9
	v_add_co_u32 v11, vcc_lo, v11, v12
	v_add_co_ci_u32_e32 v12, vcc_lo, 0, v13, vcc_lo
	v_add_co_u32 v10, vcc_lo, v11, v10
	v_add_co_ci_u32_e32 v10, vcc_lo, v12, v14, vcc_lo
	v_add_co_ci_u32_e32 v11, vcc_lo, 0, v15, vcc_lo
	v_add_co_u32 v9, vcc_lo, v10, v9
	v_add_co_ci_u32_e32 v10, vcc_lo, 0, v11, vcc_lo
	v_add_co_u32 v2, vcc_lo, v2, v9
	v_add_co_ci_u32_e32 v6, vcc_lo, v6, v10, vcc_lo
	v_mul_hi_u32 v15, v7, v2
	v_mad_u64_u32 v[11:12], null, v8, v2, 0
	v_mad_u64_u32 v[9:10], null, v7, v6, 0
	v_mad_u64_u32 v[13:14], null, v8, v6, 0
	v_add_co_u32 v2, vcc_lo, v15, v9
	v_add_co_ci_u32_e32 v6, vcc_lo, 0, v10, vcc_lo
	v_add_co_u32 v2, vcc_lo, v2, v11
	v_add_co_ci_u32_e32 v2, vcc_lo, v6, v12, vcc_lo
	v_add_co_ci_u32_e32 v6, vcc_lo, 0, v14, vcc_lo
	v_add_co_u32 v2, vcc_lo, v2, v13
	v_add_co_ci_u32_e32 v6, vcc_lo, 0, v6, vcc_lo
	v_mul_lo_u32 v11, s19, v2
	v_mad_u64_u32 v[9:10], null, s18, v2, 0
	v_mul_lo_u32 v12, s18, v6
	v_sub_co_u32 v9, vcc_lo, v7, v9
	v_add3_u32 v10, v10, v12, v11
	v_sub_nc_u32_e32 v11, v8, v10
	v_subrev_co_ci_u32_e64 v11, s0, s19, v11, vcc_lo
	v_add_co_u32 v12, s0, v2, 2
	v_add_co_ci_u32_e64 v13, s0, 0, v6, s0
	v_sub_co_u32 v14, s0, v9, s18
	v_sub_co_ci_u32_e32 v10, vcc_lo, v8, v10, vcc_lo
	v_subrev_co_ci_u32_e64 v11, s0, 0, v11, s0
	v_cmp_le_u32_e32 vcc_lo, s18, v14
	v_cmp_eq_u32_e64 s0, s19, v10
	v_cndmask_b32_e64 v14, 0, -1, vcc_lo
	v_cmp_le_u32_e32 vcc_lo, s19, v11
	v_cndmask_b32_e64 v15, 0, -1, vcc_lo
	v_cmp_le_u32_e32 vcc_lo, s18, v9
	;; [unrolled: 2-line block ×3, first 2 shown]
	v_cndmask_b32_e64 v16, 0, -1, vcc_lo
	v_cmp_eq_u32_e32 vcc_lo, s19, v11
	v_cndmask_b32_e64 v9, v16, v9, s0
	v_cndmask_b32_e32 v11, v15, v14, vcc_lo
	v_add_co_u32 v14, vcc_lo, v2, 1
	v_add_co_ci_u32_e32 v15, vcc_lo, 0, v6, vcc_lo
	v_cmp_ne_u32_e32 vcc_lo, 0, v11
	v_cndmask_b32_e32 v10, v15, v13, vcc_lo
	v_cndmask_b32_e32 v11, v14, v12, vcc_lo
	v_cmp_ne_u32_e32 vcc_lo, 0, v9
	v_cndmask_b32_e32 v10, v6, v10, vcc_lo
	v_cndmask_b32_e32 v9, v2, v11, vcc_lo
.LBB0_4:                                ;   in Loop: Header=BB0_2 Depth=1
	s_andn2_saveexec_b32 s0, s1
	s_cbranch_execz .LBB0_6
; %bb.5:                                ;   in Loop: Header=BB0_2 Depth=1
	v_cvt_f32_u32_e32 v2, s18
	s_sub_i32 s1, 0, s18
	v_rcp_iflag_f32_e32 v2, v2
	v_mul_f32_e32 v2, 0x4f7ffffe, v2
	v_cvt_u32_f32_e32 v2, v2
	v_mul_lo_u32 v6, s1, v2
	v_mul_hi_u32 v6, v2, v6
	v_add_nc_u32_e32 v2, v2, v6
	v_mul_hi_u32 v2, v7, v2
	v_mul_lo_u32 v6, v2, s18
	v_add_nc_u32_e32 v9, 1, v2
	v_sub_nc_u32_e32 v6, v7, v6
	v_subrev_nc_u32_e32 v10, s18, v6
	v_cmp_le_u32_e32 vcc_lo, s18, v6
	v_cndmask_b32_e32 v6, v6, v10, vcc_lo
	v_cndmask_b32_e32 v2, v2, v9, vcc_lo
	v_mov_b32_e32 v10, v5
	v_cmp_le_u32_e32 vcc_lo, s18, v6
	v_add_nc_u32_e32 v9, 1, v2
	v_cndmask_b32_e32 v9, v2, v9, vcc_lo
.LBB0_6:                                ;   in Loop: Header=BB0_2 Depth=1
	s_or_b32 exec_lo, exec_lo, s0
	s_load_dwordx2 s[0:1], s[6:7], 0x0
	v_mul_lo_u32 v2, v10, s18
	v_mul_lo_u32 v6, v9, s19
	v_mad_u64_u32 v[11:12], null, v9, s18, 0
	s_add_u32 s16, s16, 1
	s_addc_u32 s17, s17, 0
	s_add_u32 s6, s6, 8
	s_addc_u32 s7, s7, 0
	;; [unrolled: 2-line block ×3, first 2 shown]
	v_add3_u32 v2, v12, v6, v2
	v_sub_co_u32 v6, vcc_lo, v7, v11
	v_sub_co_ci_u32_e32 v2, vcc_lo, v8, v2, vcc_lo
	s_waitcnt lgkmcnt(0)
	v_mul_lo_u32 v7, s1, v6
	v_mul_lo_u32 v2, s0, v2
	v_mad_u64_u32 v[3:4], null, s0, v6, v[3:4]
	v_cmp_ge_u64_e64 s0, s[16:17], s[10:11]
	s_and_b32 vcc_lo, exec_lo, s0
	v_add3_u32 v4, v7, v4, v2
	s_cbranch_vccnz .LBB0_8
; %bb.7:                                ;   in Loop: Header=BB0_2 Depth=1
	v_mov_b32_e32 v7, v9
	v_mov_b32_e32 v8, v10
	s_branch .LBB0_2
.LBB0_8:
	v_mul_hi_u32 v2, 0xaf286bcb, v1
	s_lshl_b64 s[0:1], s[10:11], 3
	s_load_dwordx2 s[4:5], s[4:5], 0x20
	s_add_u32 s0, s12, s0
	s_addc_u32 s1, s13, s1
	s_load_dwordx2 s[0:1], s[0:1], 0x0
	v_sub_nc_u32_e32 v5, v1, v2
	v_lshrrev_b32_e32 v5, 1, v5
	v_add_nc_u32_e32 v2, v5, v2
	v_mul_hi_u32 v5, 0x13b13b14, v0
	s_waitcnt lgkmcnt(0)
	v_cmp_gt_u64_e32 vcc_lo, s[4:5], v[9:10]
	v_lshrrev_b32_e32 v2, 4, v2
	v_mul_lo_u32 v7, s0, v10
	v_mul_lo_u32 v8, s1, v9
	;; [unrolled: 1-line block ×3, first 2 shown]
	v_mad_u64_u32 v[2:3], null, s0, v9, v[3:4]
	v_mul_u32_u24_e32 v4, 13, v5
	v_sub_nc_u32_e32 v52, v0, v4
	v_sub_nc_u32_e32 v1, v1, v6
	v_add3_u32 v3, v8, v3, v7
	v_lshlrev_b32_e32 v149, 4, v52
	v_mul_u32_u24_e32 v1, 0x4f, v1
	v_lshlrev_b64 v[54:55], 4, v[2:3]
	v_lshlrev_b32_e32 v0, 4, v1
	s_and_saveexec_b32 s1, vcc_lo
	s_cbranch_execz .LBB0_10
; %bb.9:
	v_mov_b32_e32 v53, 0
	v_add_co_u32 v3, s0, s2, v54
	v_add_co_ci_u32_e64 v4, s0, s3, v55, s0
	v_lshlrev_b64 v[1:2], 4, v[52:53]
	v_add3_u32 v25, 0, v0, v149
	v_add_co_u32 v21, s0, v3, v1
	v_add_co_ci_u32_e64 v22, s0, v4, v2, s0
	s_clause 0x5
	global_load_dwordx4 v[1:4], v[21:22], off
	global_load_dwordx4 v[5:8], v[21:22], off offset:208
	global_load_dwordx4 v[9:12], v[21:22], off offset:416
	;; [unrolled: 1-line block ×5, first 2 shown]
	s_waitcnt vmcnt(5)
	ds_write_b128 v25, v[1:4]
	s_waitcnt vmcnt(4)
	ds_write_b128 v25, v[5:8] offset:208
	s_waitcnt vmcnt(3)
	ds_write_b128 v25, v[9:12] offset:416
	s_waitcnt vmcnt(2)
	ds_write_b128 v25, v[13:16] offset:624
	s_waitcnt vmcnt(1)
	ds_write_b128 v25, v[17:20] offset:832
	s_waitcnt vmcnt(0)
	ds_write_b128 v25, v[21:24] offset:1040
.LBB0_10:
	s_or_b32 exec_lo, exec_lo, s1
	v_add3_u32 v53, 0, v149, v0
	s_waitcnt lgkmcnt(0)
	s_barrier
	buffer_gl0_inv
	v_add_nc_u32_e32 v150, 0, v0
	ds_read_b128 v[1:4], v53 offset:624
	ds_read_b128 v[5:8], v53 offset:1040
	;; [unrolled: 1-line block ×5, first 2 shown]
	s_mov_b32 s0, 0xe8584caa
	s_mov_b32 s1, 0xbfebb67a
	v_add_nc_u32_e32 v148, v150, v149
	s_mov_b32 s5, 0x3febb67a
	s_mov_b32 s4, s0
                                        ; implicit-def: $vgpr46_vgpr47
                                        ; implicit-def: $vgpr42_vgpr43
                                        ; implicit-def: $vgpr50_vgpr51
	s_waitcnt lgkmcnt(3)
	v_add_f64 v[21:22], v[3:4], v[7:8]
	v_add_f64 v[25:26], v[1:2], v[5:6]
	v_add_f64 v[27:28], v[1:2], -v[5:6]
	s_waitcnt lgkmcnt(0)
	v_add_f64 v[31:32], v[13:14], v[17:18]
	v_add_f64 v[33:34], v[15:16], v[19:20]
	v_add_f64 v[35:36], v[3:4], -v[7:8]
	v_add_f64 v[39:40], v[13:14], -v[17:18]
	v_add_f64 v[0:1], v[9:10], v[1:2]
	v_add_f64 v[2:3], v[11:12], v[3:4]
	v_fma_f64 v[29:30], v[21:22], -0.5, v[11:12]
	v_fma_f64 v[25:26], v[25:26], -0.5, v[9:10]
	ds_read_b128 v[21:24], v148
	s_waitcnt lgkmcnt(0)
	s_barrier
	buffer_gl0_inv
	v_add_f64 v[4:5], v[0:1], v[5:6]
	v_add_f64 v[6:7], v[2:3], v[7:8]
	;; [unrolled: 1-line block ×3, first 2 shown]
	v_fma_f64 v[37:38], v[27:28], s[4:5], v[29:30]
	v_fma_f64 v[27:28], v[27:28], s[0:1], v[29:30]
	v_add_f64 v[29:30], v[15:16], -v[19:20]
	v_add_f64 v[15:16], v[23:24], v[15:16]
	v_fma_f64 v[9:10], v[31:32], -0.5, v[21:22]
	v_fma_f64 v[11:12], v[33:34], -0.5, v[23:24]
	v_fma_f64 v[21:22], v[35:36], s[0:1], v[25:26]
	v_fma_f64 v[23:24], v[35:36], s[4:5], v[25:26]
	v_add_f64 v[13:14], v[13:14], v[17:18]
	v_mul_f64 v[25:26], v[37:38], s[0:1]
	v_mul_f64 v[31:32], v[27:28], s[0:1]
	v_mul_f64 v[33:34], v[37:38], 0.5
	v_mul_f64 v[27:28], v[27:28], -0.5
	v_add_f64 v[15:16], v[15:16], v[19:20]
	v_fma_f64 v[17:18], v[29:30], s[0:1], v[9:10]
	v_fma_f64 v[19:20], v[29:30], s[4:5], v[9:10]
	;; [unrolled: 1-line block ×4, first 2 shown]
	v_cmp_gt_u32_e64 s0, 6, v52
	v_add_f64 v[0:1], v[13:14], v[4:5]
	v_fma_f64 v[25:26], v[21:22], 0.5, v[25:26]
	v_fma_f64 v[29:30], v[23:24], -0.5, v[31:32]
	v_fma_f64 v[21:22], v[21:22], s[4:5], v[33:34]
	v_fma_f64 v[31:32], v[23:24], s[4:5], v[27:28]
	v_add_f64 v[2:3], v[15:16], v[6:7]
	v_add_f64 v[12:13], v[13:14], -v[4:5]
	v_add_f64 v[14:15], v[15:16], -v[6:7]
	v_mad_u32_u24 v16, 0x50, v52, v53
	v_add_f64 v[4:5], v[17:18], v[25:26]
	v_add_f64 v[8:9], v[19:20], v[29:30]
	v_add_f64 v[6:7], v[35:36], v[21:22]
	v_add_f64 v[10:11], v[37:38], v[31:32]
	v_add_f64 v[24:25], v[17:18], -v[25:26]
	v_add_f64 v[28:29], v[19:20], -v[29:30]
	;; [unrolled: 1-line block ×4, first 2 shown]
                                        ; implicit-def: $vgpr22_vgpr23
                                        ; implicit-def: $vgpr18_vgpr19
                                        ; implicit-def: $vgpr38_vgpr39
                                        ; implicit-def: $vgpr34_vgpr35
	ds_write_b128 v16, v[0:3]
	ds_write_b128 v16, v[12:15] offset:48
	ds_write_b128 v16, v[4:7] offset:16
	;; [unrolled: 1-line block ×5, first 2 shown]
	s_waitcnt lgkmcnt(0)
	s_barrier
	buffer_gl0_inv
	s_and_saveexec_b32 s1, s0
	s_cbranch_execz .LBB0_12
; %bb.11:
	ds_read_b128 v[0:3], v148
	ds_read_b128 v[4:7], v53 offset:96
	ds_read_b128 v[8:11], v53 offset:192
	ds_read_b128 v[12:15], v53 offset:288
	ds_read_b128 v[24:27], v53 offset:384
	ds_read_b128 v[28:31], v53 offset:480
	ds_read_b128 v[48:51], v53 offset:576
	ds_read_b128 v[40:43], v53 offset:672
	ds_read_b128 v[44:47], v53 offset:768
	ds_read_b128 v[32:35], v53 offset:864
	ds_read_b128 v[36:39], v53 offset:960
	ds_read_b128 v[16:19], v53 offset:1056
	ds_read_b128 v[20:23], v53 offset:1152
.LBB0_12:
	s_or_b32 exec_lo, exec_lo, s1
	s_waitcnt lgkmcnt(0)
	s_barrier
	buffer_gl0_inv
	s_and_saveexec_b32 s33, s0
	s_cbranch_execz .LBB0_14
; %bb.13:
	v_and_b32_e32 v56, 0xff, v52
	s_mov_b32 s28, 0x42a4c3d2
	s_mov_b32 s29, 0x3fea55e2
	;; [unrolled: 1-line block ×4, first 2 shown]
	v_mul_lo_u16 v56, 0xab, v56
	s_mov_b32 s12, 0x1ea71119
	s_mov_b32 s13, 0x3fe22d96
	;; [unrolled: 1-line block ×4, first 2 shown]
	v_lshrrev_b16 v56, 10, v56
	s_mov_b32 s20, 0x66966769
	s_mov_b32 s16, 0x2ef20147
	;; [unrolled: 1-line block ×4, first 2 shown]
	v_mul_lo_u16 v56, v56, 6
	s_mov_b32 s21, 0x3fefc445
	s_mov_b32 s17, 0xbfedeba7
	;; [unrolled: 1-line block ×4, first 2 shown]
	v_sub_nc_u16 v56, v52, v56
	s_mov_b32 s25, 0xbfefc445
	s_mov_b32 s24, s20
	;; [unrolled: 1-line block ×4, first 2 shown]
	v_mul_lo_u16 v56, v56, 12
	s_mov_b32 s0, 0xd0032e0c
	s_mov_b32 s18, 0xe00740e9
	;; [unrolled: 1-line block ×4, first 2 shown]
	v_and_b32_e32 v56, 0xfc, v56
	s_mov_b32 s7, 0xbfd6b1d8
	s_mov_b32 s1, 0xbfe7f3cc
	;; [unrolled: 1-line block ×4, first 2 shown]
	v_lshlrev_b32_e32 v84, 4, v56
	s_mov_b32 s35, 0x3fe5384d
	s_mov_b32 s34, s14
	s_clause 0x1
	global_load_dwordx4 v[58:61], v84, s[8:9] offset:80
	global_load_dwordx4 v[64:67], v84, s[8:9] offset:64
	s_waitcnt vmcnt(1)
	v_mul_f64 v[56:57], v[50:51], v[60:61]
	v_fma_f64 v[56:57], v[48:49], v[58:59], v[56:57]
	v_mul_f64 v[48:49], v[48:49], v[60:61]
	v_fma_f64 v[48:49], v[50:51], v[58:59], -v[48:49]
	s_clause 0x1
	global_load_dwordx4 v[58:61], v84, s[8:9] offset:96
	global_load_dwordx4 v[68:71], v84, s[8:9] offset:112
	s_waitcnt vmcnt(1)
	v_mul_f64 v[50:51], v[42:43], v[60:61]
	v_fma_f64 v[50:51], v[40:41], v[58:59], v[50:51]
	v_mul_f64 v[40:41], v[40:41], v[60:61]
	v_fma_f64 v[58:59], v[42:43], v[58:59], -v[40:41]
	v_mul_f64 v[40:41], v[30:31], v[66:67]
	v_add_f64 v[94:95], v[48:49], -v[58:59]
	v_fma_f64 v[62:63], v[28:29], v[64:65], v[40:41]
	v_mul_f64 v[28:29], v[28:29], v[66:67]
	v_mul_f64 v[179:180], v[94:95], s[20:21]
	v_fma_f64 v[64:65], v[30:31], v[64:65], -v[28:29]
	s_waitcnt vmcnt(0)
	v_mul_f64 v[28:29], v[46:47], v[70:71]
	v_fma_f64 v[60:61], v[44:45], v[68:69], v[28:29]
	v_mul_f64 v[28:29], v[44:45], v[70:71]
	v_add_f64 v[92:93], v[62:63], -v[60:61]
	v_fma_f64 v[44:45], v[46:47], v[68:69], -v[28:29]
	s_clause 0x1
	global_load_dwordx4 v[28:31], v84, s[8:9] offset:48
	global_load_dwordx4 v[40:43], v84, s[8:9] offset:32
	s_waitcnt vmcnt(1)
	v_mul_f64 v[46:47], v[26:27], v[30:31]
	v_fma_f64 v[46:47], v[24:25], v[28:29], v[46:47]
	v_mul_f64 v[24:25], v[24:25], v[30:31]
	v_fma_f64 v[66:67], v[26:27], v[28:29], -v[24:25]
	s_clause 0x1
	global_load_dwordx4 v[24:27], v84, s[8:9] offset:128
	global_load_dwordx4 v[28:31], v84, s[8:9] offset:144
	s_waitcnt vmcnt(1)
	v_mul_f64 v[68:69], v[34:35], v[26:27]
	v_mul_f64 v[26:27], v[32:33], v[26:27]
	v_fma_f64 v[68:69], v[32:33], v[24:25], v[68:69]
	v_fma_f64 v[70:71], v[34:35], v[24:25], -v[26:27]
	v_mul_f64 v[24:25], v[14:15], v[42:43]
	v_add_f64 v[98:99], v[46:47], -v[68:69]
	v_add_f64 v[96:97], v[66:67], -v[70:71]
	v_fma_f64 v[76:77], v[12:13], v[40:41], v[24:25]
	v_mul_f64 v[12:13], v[12:13], v[42:43]
	v_mul_f64 v[42:43], v[94:95], s[30:31]
	v_fma_f64 v[78:79], v[14:15], v[40:41], -v[12:13]
	s_waitcnt vmcnt(0)
	v_mul_f64 v[12:13], v[38:39], v[30:31]
	v_fma_f64 v[72:73], v[36:37], v[28:29], v[12:13]
	v_mul_f64 v[12:13], v[36:37], v[30:31]
	v_add_f64 v[36:37], v[64:65], -v[44:45]
	v_mul_f64 v[30:31], v[98:99], s[30:31]
	v_add_f64 v[102:103], v[76:77], -v[72:73]
	v_fma_f64 v[74:75], v[38:39], v[28:29], -v[12:13]
	s_clause 0x1
	global_load_dwordx4 v[12:15], v84, s[8:9] offset:16
	global_load_dwordx4 v[24:27], v84, s[8:9]
	v_add_f64 v[38:39], v[56:57], -v[50:51]
	v_mul_f64 v[173:174], v[36:37], s[16:17]
	v_add_f64 v[100:101], v[78:79], -v[74:75]
	v_mul_f64 v[40:41], v[38:39], s[30:31]
	v_mul_f64 v[177:178], v[38:39], s[20:21]
	s_waitcnt vmcnt(1)
	v_mul_f64 v[28:29], v[10:11], v[14:15]
	v_fma_f64 v[80:81], v[8:9], v[12:13], v[28:29]
	v_mul_f64 v[8:9], v[8:9], v[14:15]
	v_fma_f64 v[82:83], v[10:11], v[12:13], -v[8:9]
	s_clause 0x1
	global_load_dwordx4 v[8:11], v84, s[8:9] offset:160
	global_load_dwordx4 v[12:15], v84, s[8:9] offset:176
	s_waitcnt vmcnt(1)
	v_mul_f64 v[28:29], v[18:19], v[10:11]
	v_mul_f64 v[10:11], v[16:17], v[10:11]
	v_fma_f64 v[84:85], v[16:17], v[8:9], v[28:29]
	v_fma_f64 v[86:87], v[18:19], v[8:9], -v[10:11]
	v_mul_f64 v[8:9], v[6:7], v[26:27]
	v_mul_f64 v[28:29], v[96:97], s[30:31]
	v_add_f64 v[106:107], v[80:81], -v[84:85]
	v_add_f64 v[104:105], v[82:83], -v[86:87]
	v_fma_f64 v[8:9], v[4:5], v[24:25], v[8:9]
	v_mul_f64 v[4:5], v[4:5], v[26:27]
	v_mul_f64 v[10:11], v[104:105], s[30:31]
	v_add_f64 v[134:135], v[0:1], v[8:9]
	v_fma_f64 v[4:5], v[6:7], v[24:25], -v[4:5]
	s_waitcnt vmcnt(0)
	v_mul_f64 v[6:7], v[22:23], v[14:15]
	v_fma_f64 v[88:89], v[20:21], v[12:13], v[6:7]
	v_mul_f64 v[6:7], v[20:21], v[14:15]
	v_mul_f64 v[14:15], v[36:37], s[30:31]
	;; [unrolled: 1-line block ×3, first 2 shown]
	v_add_f64 v[16:17], v[8:9], -v[88:89]
	v_fma_f64 v[90:91], v[22:23], v[12:13], -v[6:7]
	v_mul_f64 v[6:7], v[106:107], s[30:31]
	v_mul_f64 v[12:13], v[92:93], s[30:31]
	;; [unrolled: 1-line block ×3, first 2 shown]
	s_mov_b32 s31, 0xbfddbe06
	v_add_f64 v[132:133], v[8:9], v[88:89]
	v_mul_f64 v[34:35], v[16:17], s[26:27]
	v_add_f64 v[108:109], v[4:5], v[90:91]
	v_mul_f64 v[18:19], v[16:17], s[22:23]
	v_mul_f64 v[24:25], v[16:17], s[14:15]
	;; [unrolled: 1-line block ×5, first 2 shown]
	v_fma_f64 v[118:119], v[108:109], s[12:13], v[34:35]
	v_fma_f64 v[120:121], v[108:109], s[12:13], -v[34:35]
	v_add_f64 v[34:35], v[4:5], -v[90:91]
	v_fma_f64 v[110:111], v[108:109], s[4:5], v[18:19]
	v_fma_f64 v[18:19], v[108:109], s[4:5], -v[18:19]
	v_fma_f64 v[112:113], v[108:109], s[0:1], v[24:25]
	v_fma_f64 v[24:25], v[108:109], s[0:1], -v[24:25]
	;; [unrolled: 2-line block ×5, first 2 shown]
	v_add_f64 v[146:147], v[2:3], v[118:119]
	v_add_f64 v[118:119], v[66:67], v[70:71]
	v_mul_f64 v[126:127], v[34:35], s[16:17]
	v_mul_f64 v[130:131], v[34:35], s[26:27]
	v_mul_f64 v[108:109], v[34:35], s[22:23]
	v_mul_f64 v[124:125], v[34:35], s[14:15]
	v_mul_f64 v[128:129], v[34:35], s[24:25]
	v_mul_f64 v[34:35], v[34:35], s[30:31]
	v_add_f64 v[18:19], v[2:3], v[18:19]
	v_add_f64 v[157:158], v[2:3], v[112:113]
	;; [unrolled: 1-line block ×9, first 2 shown]
	s_mov_b32 s31, 0x3fcea1e5
	s_mov_b32 s30, s22
	v_fma_f64 v[140:141], v[132:133], s[6:7], -v[126:127]
	v_fma_f64 v[144:145], v[132:133], s[12:13], -v[130:131]
	v_fma_f64 v[130:131], v[132:133], s[12:13], v[130:131]
	v_fma_f64 v[136:137], v[132:133], s[4:5], -v[108:109]
	v_fma_f64 v[108:109], v[132:133], s[4:5], v[108:109]
	;; [unrolled: 2-line block ×3, first 2 shown]
	v_fma_f64 v[126:127], v[132:133], s[6:7], v[126:127]
	v_fma_f64 v[142:143], v[132:133], s[10:11], -v[128:129]
	v_fma_f64 v[128:129], v[132:133], s[10:11], v[128:129]
	v_fma_f64 v[151:152], v[132:133], s[18:19], -v[34:35]
	v_fma_f64 v[153:154], v[132:133], s[18:19], v[34:35]
	v_add_f64 v[132:133], v[2:3], v[4:5]
	v_add_f64 v[4:5], v[2:3], v[110:111]
	;; [unrolled: 1-line block ×23, first 2 shown]
	v_mul_f64 v[151:152], v[96:97], s[28:29]
	v_mul_f64 v[153:154], v[92:93], s[16:17]
	v_add_f64 v[82:83], v[132:133], v[82:83]
	v_add_f64 v[80:81], v[134:135], v[80:81]
	v_fma_f64 v[0:1], v[130:131], s[18:19], v[6:7]
	v_fma_f64 v[6:7], v[130:131], s[18:19], -v[6:7]
	v_fma_f64 v[2:3], v[128:129], s[18:19], -v[10:11]
	v_fma_f64 v[10:11], v[128:129], s[18:19], v[10:11]
	v_add_f64 v[78:79], v[82:83], v[78:79]
	v_add_f64 v[76:77], v[80:81], v[76:77]
	;; [unrolled: 1-line block ×3, first 2 shown]
	v_mul_f64 v[4:5], v[102:103], s[14:15]
	v_add_f64 v[6:7], v[6:7], v[18:19]
	v_mul_f64 v[18:19], v[104:105], s[20:21]
	v_add_f64 v[2:3], v[2:3], v[8:9]
	v_add_f64 v[10:11], v[10:11], v[155:156]
	;; [unrolled: 1-line block ×4, first 2 shown]
	v_fma_f64 v[8:9], v[126:127], s[0:1], v[4:5]
	v_fma_f64 v[4:5], v[126:127], s[0:1], -v[4:5]
	v_add_f64 v[64:65], v[66:67], v[64:65]
	v_add_f64 v[46:47], v[46:47], v[62:63]
	;; [unrolled: 1-line block ×3, first 2 shown]
	v_mul_f64 v[8:9], v[100:101], s[14:15]
	v_add_f64 v[4:5], v[4:5], v[6:7]
	v_add_f64 v[48:49], v[64:65], v[48:49]
	;; [unrolled: 1-line block ×3, first 2 shown]
	v_fma_f64 v[16:17], v[124:125], s[0:1], -v[8:9]
	v_fma_f64 v[6:7], v[124:125], s[0:1], v[8:9]
	v_add_f64 v[48:49], v[48:49], v[58:59]
	v_add_f64 v[46:47], v[46:47], v[50:51]
	;; [unrolled: 1-line block ×3, first 2 shown]
	v_mul_f64 v[16:17], v[98:99], s[28:29]
	v_add_f64 v[6:7], v[6:7], v[10:11]
	v_add_f64 v[44:45], v[48:49], v[44:45]
	;; [unrolled: 1-line block ×3, first 2 shown]
	v_fma_f64 v[108:109], v[118:119], s[12:13], v[16:17]
	v_fma_f64 v[8:9], v[118:119], s[12:13], -v[16:17]
	v_mul_f64 v[16:17], v[106:107], s[20:21]
	v_add_f64 v[44:45], v[44:45], v[70:71]
	v_add_f64 v[46:47], v[46:47], v[68:69]
	;; [unrolled: 1-line block ×3, first 2 shown]
	v_fma_f64 v[108:109], v[116:117], s[12:13], -v[151:152]
	v_add_f64 v[4:5], v[8:9], v[4:5]
	v_fma_f64 v[8:9], v[116:117], s[12:13], v[151:152]
	v_mul_f64 v[151:152], v[102:103], s[26:27]
	v_add_f64 v[44:45], v[44:45], v[74:75]
	v_add_f64 v[46:47], v[46:47], v[72:73]
	;; [unrolled: 1-line block ×3, first 2 shown]
	v_fma_f64 v[108:109], v[114:115], s[6:7], v[153:154]
	v_add_f64 v[6:7], v[8:9], v[6:7]
	v_fma_f64 v[8:9], v[114:115], s[6:7], -v[153:154]
	v_fma_f64 v[153:154], v[126:127], s[12:13], v[151:152]
	v_add_f64 v[44:45], v[44:45], v[86:87]
	v_add_f64 v[48:49], v[46:47], v[84:85]
	;; [unrolled: 1-line block ×3, first 2 shown]
	v_fma_f64 v[108:109], v[112:113], s[6:7], -v[173:174]
	v_add_f64 v[4:5], v[8:9], v[4:5]
	v_fma_f64 v[8:9], v[112:113], s[6:7], v[173:174]
	v_mul_f64 v[173:174], v[38:39], s[16:17]
	v_add_f64 v[46:47], v[44:45], v[90:91]
	v_add_f64 v[44:45], v[48:49], v[88:89]
	;; [unrolled: 1-line block ×5, first 2 shown]
	v_fma_f64 v[6:7], v[110:111], s[10:11], -v[177:178]
	v_fma_f64 v[2:3], v[110:111], s[10:11], v[177:178]
	v_fma_f64 v[10:11], v[108:109], s[10:11], v[179:180]
	v_add_f64 v[6:7], v[6:7], v[4:5]
	v_add_f64 v[2:3], v[2:3], v[0:1]
	v_fma_f64 v[0:1], v[108:109], s[10:11], -v[179:180]
	v_add_f64 v[4:5], v[10:11], v[8:9]
	v_fma_f64 v[8:9], v[130:131], s[10:11], v[16:17]
	v_fma_f64 v[10:11], v[128:129], s[10:11], -v[18:19]
	v_fma_f64 v[16:17], v[130:131], s[10:11], -v[16:17]
	v_fma_f64 v[18:19], v[128:129], s[10:11], v[18:19]
	v_add_f64 v[0:1], v[0:1], v[175:176]
	v_mul_f64 v[175:176], v[94:95], s[16:17]
	v_add_f64 v[8:9], v[8:9], v[157:158]
	v_add_f64 v[10:11], v[10:11], v[159:160]
	;; [unrolled: 1-line block ×3, first 2 shown]
	v_fma_f64 v[24:25], v[126:127], s[12:13], -v[151:152]
	v_add_f64 v[18:19], v[18:19], v[161:162]
	v_mul_f64 v[151:152], v[104:105], s[34:35]
	v_add_f64 v[8:9], v[153:154], v[8:9]
	v_mul_f64 v[153:154], v[100:101], s[26:27]
	v_add_f64 v[16:17], v[24:25], v[16:17]
	v_fma_f64 v[155:156], v[124:125], s[12:13], -v[153:154]
	v_fma_f64 v[24:25], v[124:125], s[12:13], v[153:154]
	v_fma_f64 v[153:154], v[126:127], s[18:19], v[22:23]
	v_fma_f64 v[22:23], v[126:127], s[18:19], -v[22:23]
	v_add_f64 v[10:11], v[155:156], v[10:11]
	v_mul_f64 v[155:156], v[98:99], s[30:31]
	v_add_f64 v[18:19], v[24:25], v[18:19]
	v_fma_f64 v[157:158], v[118:119], s[4:5], v[155:156]
	v_fma_f64 v[24:25], v[118:119], s[4:5], -v[155:156]
	v_add_f64 v[8:9], v[157:158], v[8:9]
	v_mul_f64 v[157:158], v[96:97], s[30:31]
	v_add_f64 v[16:17], v[24:25], v[16:17]
	v_fma_f64 v[159:160], v[116:117], s[4:5], -v[157:158]
	v_fma_f64 v[24:25], v[116:117], s[4:5], v[157:158]
	v_add_f64 v[10:11], v[159:160], v[10:11]
	v_fma_f64 v[159:160], v[114:115], s[18:19], v[12:13]
	v_add_f64 v[18:19], v[24:25], v[18:19]
	v_fma_f64 v[12:13], v[114:115], s[18:19], -v[12:13]
	v_mul_f64 v[24:25], v[106:107], s[34:35]
	v_add_f64 v[8:9], v[159:160], v[8:9]
	v_fma_f64 v[159:160], v[112:113], s[18:19], -v[14:15]
	v_fma_f64 v[14:15], v[112:113], s[18:19], v[14:15]
	v_add_f64 v[12:13], v[12:13], v[16:17]
	v_add_f64 v[159:160], v[159:160], v[10:11]
	;; [unrolled: 1-line block ×3, first 2 shown]
	v_fma_f64 v[14:15], v[110:111], s[6:7], -v[173:174]
	v_fma_f64 v[18:19], v[108:109], s[6:7], v[175:176]
	v_fma_f64 v[10:11], v[110:111], s[6:7], v[173:174]
	v_add_f64 v[14:15], v[14:15], v[12:13]
	v_add_f64 v[12:13], v[18:19], v[16:17]
	v_fma_f64 v[16:17], v[130:131], s[0:1], v[24:25]
	v_fma_f64 v[18:19], v[128:129], s[0:1], -v[151:152]
	v_fma_f64 v[24:25], v[130:131], s[0:1], -v[24:25]
	v_add_f64 v[10:11], v[10:11], v[8:9]
	v_fma_f64 v[8:9], v[108:109], s[6:7], -v[175:176]
	v_add_f64 v[16:17], v[16:17], v[163:164]
	v_add_f64 v[18:19], v[18:19], v[165:166]
	;; [unrolled: 1-line block ×3, first 2 shown]
	v_fma_f64 v[26:27], v[128:129], s[0:1], v[151:152]
	v_add_f64 v[8:9], v[8:9], v[159:160]
	v_mul_f64 v[163:164], v[38:39], s[28:29]
	v_mul_f64 v[151:152], v[106:107], s[22:23]
	;; [unrolled: 1-line block ×3, first 2 shown]
	s_mov_b32 s29, 0x3fedeba7
	s_mov_b32 s28, s16
	v_add_f64 v[16:17], v[153:154], v[16:17]
	v_fma_f64 v[153:154], v[124:125], s[18:19], -v[20:21]
	v_add_f64 v[22:23], v[22:23], v[24:25]
	v_add_f64 v[26:27], v[26:27], v[167:168]
	v_fma_f64 v[20:21], v[124:125], s[18:19], v[20:21]
	v_mul_f64 v[167:168], v[94:95], s[14:15]
	v_mul_f64 v[94:95], v[94:95], s[22:23]
	v_add_f64 v[18:19], v[153:154], v[18:19]
	v_mul_f64 v[153:154], v[98:99], s[24:25]
	v_add_f64 v[20:21], v[20:21], v[26:27]
	v_fma_f64 v[26:27], v[108:109], s[12:13], v[165:166]
	v_fma_f64 v[155:156], v[118:119], s[10:11], v[153:154]
	v_fma_f64 v[24:25], v[118:119], s[10:11], -v[153:154]
	v_mul_f64 v[153:154], v[104:105], s[22:23]
	v_add_f64 v[16:17], v[155:156], v[16:17]
	v_mul_f64 v[155:156], v[96:97], s[24:25]
	v_add_f64 v[22:23], v[24:25], v[22:23]
	v_fma_f64 v[157:158], v[116:117], s[10:11], -v[155:156]
	v_fma_f64 v[24:25], v[116:117], s[10:11], v[155:156]
	v_mul_f64 v[155:156], v[102:103], s[28:29]
	v_add_f64 v[18:19], v[157:158], v[18:19]
	v_mul_f64 v[157:158], v[92:93], s[30:31]
	v_add_f64 v[20:21], v[24:25], v[20:21]
	v_fma_f64 v[159:160], v[114:115], s[4:5], v[157:158]
	v_fma_f64 v[24:25], v[114:115], s[4:5], -v[157:158]
	v_fma_f64 v[157:158], v[126:127], s[6:7], v[155:156]
	v_add_f64 v[16:17], v[159:160], v[16:17]
	v_mul_f64 v[159:160], v[36:37], s[30:31]
	v_add_f64 v[22:23], v[24:25], v[22:23]
	v_fma_f64 v[24:25], v[112:113], s[4:5], v[159:160]
	v_fma_f64 v[161:162], v[112:113], s[4:5], -v[159:160]
	v_add_f64 v[20:21], v[24:25], v[20:21]
	v_fma_f64 v[24:25], v[110:111], s[12:13], -v[163:164]
	v_add_f64 v[161:162], v[161:162], v[18:19]
	v_fma_f64 v[18:19], v[110:111], s[12:13], v[163:164]
	v_add_f64 v[20:21], v[26:27], v[20:21]
	v_add_f64 v[22:23], v[24:25], v[22:23]
	v_fma_f64 v[24:25], v[130:131], s[4:5], v[151:152]
	v_fma_f64 v[26:27], v[128:129], s[4:5], -v[153:154]
	v_fma_f64 v[151:152], v[130:131], s[4:5], -v[151:152]
	v_add_f64 v[18:19], v[18:19], v[16:17]
	v_fma_f64 v[16:17], v[108:109], s[12:13], -v[165:166]
	v_mul_f64 v[165:166], v[38:39], s[14:15]
	v_add_f64 v[24:25], v[24:25], v[169:170]
	v_add_f64 v[26:27], v[26:27], v[171:172]
	;; [unrolled: 1-line block ×3, first 2 shown]
	v_fma_f64 v[151:152], v[128:129], s[4:5], v[153:154]
	v_add_f64 v[16:17], v[16:17], v[161:162]
	v_add_f64 v[24:25], v[157:158], v[24:25]
	v_mul_f64 v[157:158], v[100:101], s[28:29]
	v_add_f64 v[32:33], v[151:152], v[32:33]
	v_fma_f64 v[151:152], v[126:127], s[6:7], -v[155:156]
	v_fma_f64 v[159:160], v[124:125], s[6:7], -v[157:158]
	v_add_f64 v[34:35], v[151:152], v[34:35]
	v_fma_f64 v[151:152], v[124:125], s[6:7], v[157:158]
	v_add_f64 v[26:27], v[159:160], v[26:27]
	v_fma_f64 v[159:160], v[118:119], s[18:19], v[30:31]
	v_fma_f64 v[30:31], v[118:119], s[18:19], -v[30:31]
	v_add_f64 v[32:33], v[151:152], v[32:33]
	v_fma_f64 v[151:152], v[108:109], s[0:1], v[167:168]
	v_add_f64 v[24:25], v[159:160], v[24:25]
	v_fma_f64 v[159:160], v[116:117], s[18:19], -v[28:29]
	v_fma_f64 v[28:29], v[116:117], s[18:19], v[28:29]
	v_add_f64 v[30:31], v[30:31], v[34:35]
	v_add_f64 v[26:27], v[159:160], v[26:27]
	v_mul_f64 v[159:160], v[92:93], s[26:27]
	v_add_f64 v[28:29], v[28:29], v[32:33]
	v_fma_f64 v[161:162], v[114:115], s[12:13], v[159:160]
	v_fma_f64 v[32:33], v[114:115], s[12:13], -v[159:160]
	v_add_f64 v[24:25], v[161:162], v[24:25]
	v_mul_f64 v[161:162], v[36:37], s[26:27]
	v_add_f64 v[30:31], v[32:33], v[30:31]
	v_fma_f64 v[32:33], v[112:113], s[12:13], v[161:162]
	v_fma_f64 v[163:164], v[112:113], s[12:13], -v[161:162]
	v_add_f64 v[28:29], v[32:33], v[28:29]
	v_fma_f64 v[32:33], v[110:111], s[0:1], -v[165:166]
	v_add_f64 v[163:164], v[163:164], v[26:27]
	v_fma_f64 v[26:27], v[110:111], s[0:1], v[165:166]
	v_add_f64 v[34:35], v[32:33], v[30:31]
	v_add_f64 v[32:33], v[151:152], v[28:29]
	v_mul_f64 v[151:152], v[106:107], s[16:17]
	v_add_f64 v[26:27], v[26:27], v[24:25]
	v_fma_f64 v[24:25], v[108:109], s[0:1], -v[167:168]
	v_mul_f64 v[106:107], v[106:107], s[26:27]
	v_fma_f64 v[28:29], v[130:131], s[6:7], v[151:152]
	v_fma_f64 v[151:152], v[130:131], s[6:7], -v[151:152]
	v_add_f64 v[24:25], v[24:25], v[163:164]
	v_fma_f64 v[48:49], v[130:131], s[12:13], v[106:107]
	v_add_f64 v[28:29], v[28:29], v[146:147]
	v_mul_f64 v[146:147], v[104:105], s[16:17]
	v_add_f64 v[142:143], v[151:152], v[142:143]
	v_mul_f64 v[104:105], v[104:105], s[26:27]
	v_add_f64 v[48:49], v[48:49], v[120:121]
	v_fma_f64 v[30:31], v[128:129], s[6:7], -v[146:147]
	v_fma_f64 v[146:147], v[128:129], s[6:7], v[146:147]
	v_fma_f64 v[50:51], v[128:129], s[12:13], -v[104:105]
	v_add_f64 v[30:31], v[30:31], v[144:145]
	v_mul_f64 v[144:145], v[102:103], s[22:23]
	v_add_f64 v[140:141], v[146:147], v[140:141]
	v_mul_f64 v[102:103], v[102:103], s[24:25]
	v_add_f64 v[50:51], v[50:51], v[122:123]
	v_fma_f64 v[153:154], v[126:127], s[4:5], v[144:145]
	v_fma_f64 v[144:145], v[126:127], s[4:5], -v[144:145]
	v_fma_f64 v[56:57], v[126:127], s[10:11], v[102:103]
	v_add_f64 v[28:29], v[153:154], v[28:29]
	v_mul_f64 v[153:154], v[100:101], s[22:23]
	v_add_f64 v[142:143], v[144:145], v[142:143]
	v_mul_f64 v[100:101], v[100:101], s[24:25]
	v_add_f64 v[48:49], v[56:57], v[48:49]
	v_fma_f64 v[155:156], v[124:125], s[4:5], -v[153:154]
	v_fma_f64 v[144:145], v[124:125], s[4:5], v[153:154]
	v_fma_f64 v[58:59], v[124:125], s[10:11], -v[100:101]
	v_add_f64 v[30:31], v[155:156], v[30:31]
	v_mul_f64 v[155:156], v[98:99], s[34:35]
	v_add_f64 v[140:141], v[144:145], v[140:141]
	v_mul_f64 v[98:99], v[98:99], s[16:17]
	v_add_f64 v[50:51], v[58:59], v[50:51]
	v_fma_f64 v[157:158], v[118:119], s[0:1], v[155:156]
	v_fma_f64 v[144:145], v[118:119], s[0:1], -v[155:156]
	v_fma_f64 v[60:61], v[118:119], s[6:7], v[98:99]
	v_add_f64 v[28:29], v[157:158], v[28:29]
	v_mul_f64 v[157:158], v[96:97], s[34:35]
	v_add_f64 v[142:143], v[144:145], v[142:143]
	v_mul_f64 v[96:97], v[96:97], s[16:17]
	v_add_f64 v[48:49], v[60:61], v[48:49]
	v_fma_f64 v[159:160], v[116:117], s[0:1], -v[157:158]
	v_fma_f64 v[144:145], v[116:117], s[0:1], v[157:158]
	v_fma_f64 v[62:63], v[116:117], s[6:7], -v[96:97]
	v_add_f64 v[30:31], v[159:160], v[30:31]
	v_mul_f64 v[159:160], v[92:93], s[20:21]
	v_add_f64 v[140:141], v[144:145], v[140:141]
	v_mul_f64 v[92:93], v[92:93], s[14:15]
	v_add_f64 v[50:51], v[62:63], v[50:51]
	v_fma_f64 v[62:63], v[108:109], s[4:5], -v[94:95]
	v_fma_f64 v[161:162], v[114:115], s[10:11], v[159:160]
	v_fma_f64 v[144:145], v[114:115], s[10:11], -v[159:160]
	v_fma_f64 v[56:57], v[114:115], s[0:1], v[92:93]
	v_add_f64 v[28:29], v[161:162], v[28:29]
	v_mul_f64 v[161:162], v[36:37], s[20:21]
	v_add_f64 v[142:143], v[144:145], v[142:143]
	v_add_f64 v[48:49], v[56:57], v[48:49]
	v_fma_f64 v[163:164], v[112:113], s[10:11], -v[161:162]
	v_fma_f64 v[144:145], v[112:113], s[10:11], v[161:162]
	v_add_f64 v[163:164], v[163:164], v[30:31]
	v_fma_f64 v[30:31], v[110:111], s[18:19], v[40:41]
	v_add_f64 v[140:141], v[144:145], v[140:141]
	v_fma_f64 v[40:41], v[110:111], s[18:19], -v[40:41]
	v_fma_f64 v[144:145], v[108:109], s[18:19], v[42:43]
	v_add_f64 v[30:31], v[30:31], v[28:29]
	v_fma_f64 v[28:29], v[108:109], s[18:19], -v[42:43]
	v_add_f64 v[42:43], v[40:41], v[142:143]
	v_add_f64 v[40:41], v[144:145], v[140:141]
	v_fma_f64 v[140:141], v[130:131], s[12:13], -v[106:107]
	v_add_f64 v[28:29], v[28:29], v[163:164]
	v_add_f64 v[138:139], v[140:141], v[138:139]
	v_fma_f64 v[140:141], v[128:129], s[12:13], v[104:105]
	v_add_f64 v[136:137], v[140:141], v[136:137]
	v_fma_f64 v[140:141], v[126:127], s[10:11], -v[102:103]
	v_add_f64 v[138:139], v[140:141], v[138:139]
	v_fma_f64 v[140:141], v[124:125], s[10:11], v[100:101]
	v_add_f64 v[136:137], v[140:141], v[136:137]
	v_fma_f64 v[140:141], v[118:119], s[6:7], -v[98:99]
	;; [unrolled: 4-line block ×3, first 2 shown]
	v_add_f64 v[138:139], v[140:141], v[138:139]
	v_mul_f64 v[140:141], v[36:37], s[14:15]
	v_fma_f64 v[36:37], v[112:113], s[0:1], v[140:141]
	v_fma_f64 v[58:59], v[112:113], s[0:1], -v[140:141]
	v_add_f64 v[36:37], v[36:37], v[136:137]
	v_mul_f64 v[136:137], v[38:39], s[22:23]
	v_add_f64 v[56:57], v[58:59], v[50:51]
	v_fma_f64 v[38:39], v[110:111], s[4:5], -v[136:137]
	v_fma_f64 v[60:61], v[110:111], s[4:5], v[136:137]
	v_add_f64 v[38:39], v[38:39], v[138:139]
	v_fma_f64 v[138:139], v[108:109], s[4:5], v[94:95]
	v_add_f64 v[50:51], v[60:61], v[48:49]
	v_add_f64 v[48:49], v[62:63], v[56:57]
	;; [unrolled: 1-line block ×3, first 2 shown]
	ds_write_b128 v53, v[40:43] offset:192
	ds_write_b128 v53, v[32:35] offset:288
	;; [unrolled: 1-line block ×11, first 2 shown]
	ds_write_b128 v148, v[44:47]
	ds_write_b128 v53, v[48:51] offset:1152
.LBB0_14:
	s_or_b32 exec_lo, exec_lo, s33
	s_waitcnt lgkmcnt(0)
	s_barrier
	buffer_gl0_inv
	ds_read_b128 v[0:3], v148
	v_sub_nc_u32_e32 v10, v150, v149
	s_mov_b32 s1, exec_lo
                                        ; implicit-def: $vgpr6_vgpr7
                                        ; implicit-def: $vgpr4_vgpr5
                                        ; implicit-def: $vgpr8_vgpr9
	v_cmpx_ne_u32_e32 0, v52
	s_xor_b32 s1, exec_lo, s1
	s_cbranch_execz .LBB0_16
; %bb.15:
	v_mov_b32_e32 v53, 0
	ds_read_b128 v[11:14], v10 offset:1248
                                        ; implicit-def: $vgpr150
	v_lshlrev_b64 v[4:5], 4, v[52:53]
	v_add_co_u32 v4, s0, s8, v4
	v_add_co_ci_u32_e64 v5, s0, s9, v5, s0
	global_load_dwordx4 v[6:9], v[4:5], off offset:1152
	s_waitcnt lgkmcnt(0)
	v_add_f64 v[4:5], v[0:1], -v[11:12]
	v_add_f64 v[15:16], v[2:3], v[13:14]
	v_add_f64 v[2:3], v[2:3], -v[13:14]
	v_add_f64 v[0:1], v[0:1], v[11:12]
	v_mul_f64 v[4:5], v[4:5], 0.5
	v_mul_f64 v[13:14], v[15:16], 0.5
	;; [unrolled: 1-line block ×3, first 2 shown]
	s_waitcnt vmcnt(0)
	v_mul_f64 v[11:12], v[4:5], v[8:9]
	v_fma_f64 v[15:16], v[13:14], v[8:9], v[2:3]
	v_fma_f64 v[2:3], v[13:14], v[8:9], -v[2:3]
	v_fma_f64 v[8:9], v[0:1], 0.5, v[11:12]
	v_fma_f64 v[0:1], v[0:1], 0.5, -v[11:12]
	v_fma_f64 v[11:12], -v[6:7], v[4:5], v[15:16]
	v_fma_f64 v[2:3], -v[6:7], v[4:5], v[2:3]
	ds_write_b64 v148, v[11:12] offset:8
	ds_write_b64 v10, v[2:3] offset:1256
	v_fma_f64 v[4:5], v[13:14], v[6:7], v[8:9]
	v_mov_b32_e32 v8, v52
	v_fma_f64 v[6:7], -v[13:14], v[6:7], v[0:1]
	v_mov_b32_e32 v9, v53
                                        ; implicit-def: $vgpr0_vgpr1
.LBB0_16:
	s_andn2_saveexec_b32 s0, s1
	s_cbranch_execz .LBB0_18
; %bb.17:
	s_mov_b32 s4, 0
	s_waitcnt lgkmcnt(0)
	v_add_f64 v[6:7], v[0:1], -v[2:3]
	s_mov_b32 s5, s4
	v_mov_b32_e32 v4, s4
	v_mov_b32_e32 v5, s5
	;; [unrolled: 1-line block ×4, first 2 shown]
	ds_write_b64 v148, v[4:5] offset:8
	ds_write_b64 v10, v[4:5] offset:1256
	ds_read_b64 v[11:12], v150 offset:632
	v_add_f64 v[4:5], v[0:1], v[2:3]
	s_waitcnt lgkmcnt(0)
	v_xor_b32_e32 v12, 0x80000000, v12
	ds_write_b64 v150, v[11:12] offset:632
.LBB0_18:
	s_or_b32 exec_lo, exec_lo, s0
	s_waitcnt lgkmcnt(0)
	v_lshlrev_b64 v[0:1], 4, v[8:9]
	s_add_u32 s0, s8, 0x480
	s_addc_u32 s1, s9, 0
	v_add_co_u32 v2, s0, s0, v0
	v_add_co_ci_u32_e64 v3, s0, s1, v1, s0
	s_clause 0x1
	global_load_dwordx4 v[11:14], v[2:3], off offset:208
	global_load_dwordx4 v[15:18], v[2:3], off offset:416
	ds_write_b64 v148, v[4:5]
	ds_write_b64 v10, v[6:7] offset:1248
	ds_read_b128 v[2:5], v148 offset:208
	ds_read_b128 v[6:9], v10 offset:1040
	s_waitcnt lgkmcnt(0)
	v_add_f64 v[19:20], v[2:3], -v[6:7]
	v_add_f64 v[21:22], v[4:5], v[8:9]
	v_add_f64 v[4:5], v[4:5], -v[8:9]
	v_add_f64 v[2:3], v[2:3], v[6:7]
	v_mul_f64 v[8:9], v[19:20], 0.5
	v_mul_f64 v[19:20], v[21:22], 0.5
	;; [unrolled: 1-line block ×3, first 2 shown]
	s_waitcnt vmcnt(1)
	v_mul_f64 v[6:7], v[8:9], v[13:14]
	v_fma_f64 v[21:22], v[19:20], v[13:14], v[4:5]
	v_fma_f64 v[4:5], v[19:20], v[13:14], -v[4:5]
	v_fma_f64 v[13:14], v[2:3], 0.5, v[6:7]
	v_fma_f64 v[2:3], v[2:3], 0.5, -v[6:7]
	v_fma_f64 v[6:7], -v[11:12], v[8:9], v[21:22]
	v_fma_f64 v[4:5], -v[11:12], v[8:9], v[4:5]
	v_fma_f64 v[8:9], v[19:20], v[11:12], v[13:14]
	v_fma_f64 v[2:3], -v[19:20], v[11:12], v[2:3]
	ds_write2_b64 v148, v[8:9], v[6:7] offset0:26 offset1:27
	ds_write_b128 v10, v[2:5] offset:1040
	ds_read_b128 v[2:5], v148 offset:416
	ds_read_b128 v[6:9], v10 offset:832
	s_waitcnt lgkmcnt(0)
	v_add_f64 v[11:12], v[2:3], -v[6:7]
	v_add_f64 v[13:14], v[4:5], v[8:9]
	v_add_f64 v[4:5], v[4:5], -v[8:9]
	v_add_f64 v[2:3], v[2:3], v[6:7]
	v_mul_f64 v[8:9], v[11:12], 0.5
	v_mul_f64 v[11:12], v[13:14], 0.5
	;; [unrolled: 1-line block ×3, first 2 shown]
	s_waitcnt vmcnt(0)
	v_mul_f64 v[6:7], v[8:9], v[17:18]
	v_fma_f64 v[13:14], v[11:12], v[17:18], v[4:5]
	v_fma_f64 v[4:5], v[11:12], v[17:18], -v[4:5]
	v_fma_f64 v[17:18], v[2:3], 0.5, v[6:7]
	v_fma_f64 v[2:3], v[2:3], 0.5, -v[6:7]
	v_fma_f64 v[6:7], -v[15:16], v[8:9], v[13:14]
	v_fma_f64 v[4:5], -v[15:16], v[8:9], v[4:5]
	v_fma_f64 v[8:9], v[11:12], v[15:16], v[17:18]
	v_fma_f64 v[2:3], -v[11:12], v[15:16], v[2:3]
	ds_write2_b64 v148, v[8:9], v[6:7] offset0:52 offset1:53
	ds_write_b128 v10, v[2:5] offset:832
	s_waitcnt lgkmcnt(0)
	s_barrier
	buffer_gl0_inv
	s_and_saveexec_b32 s0, vcc_lo
	s_cbranch_execz .LBB0_21
; %bb.19:
	ds_read_b128 v[4:7], v148
	ds_read_b128 v[8:11], v148 offset:208
	ds_read_b128 v[12:15], v148 offset:416
	;; [unrolled: 1-line block ×5, first 2 shown]
	v_add_co_u32 v2, vcc_lo, s2, v54
	v_add_co_ci_u32_e32 v3, vcc_lo, s3, v55, vcc_lo
	v_add_co_u32 v0, vcc_lo, v2, v0
	v_add_co_ci_u32_e32 v1, vcc_lo, v3, v1, vcc_lo
	v_cmp_eq_u32_e32 vcc_lo, 12, v52
	s_waitcnt lgkmcnt(5)
	global_store_dwordx4 v[0:1], v[4:7], off
	s_waitcnt lgkmcnt(4)
	global_store_dwordx4 v[0:1], v[8:11], off offset:208
	s_waitcnt lgkmcnt(3)
	global_store_dwordx4 v[0:1], v[12:15], off offset:416
	s_waitcnt lgkmcnt(2)
	global_store_dwordx4 v[0:1], v[16:19], off offset:624
	s_waitcnt lgkmcnt(1)
	global_store_dwordx4 v[0:1], v[20:23], off offset:832
	s_waitcnt lgkmcnt(0)
	global_store_dwordx4 v[0:1], v[24:27], off offset:1040
	s_and_b32 exec_lo, exec_lo, vcc_lo
	s_cbranch_execz .LBB0_21
; %bb.20:
	ds_read_b128 v[4:7], v148 offset:1056
	s_waitcnt lgkmcnt(0)
	global_store_dwordx4 v[2:3], v[4:7], off offset:1248
.LBB0_21:
	s_endpgm
	.section	.rodata,"a",@progbits
	.p2align	6, 0x0
	.amdhsa_kernel fft_rtc_back_len78_factors_6_13_wgs_247_tpt_13_dp_ip_CI_unitstride_sbrr_R2C_dirReg
		.amdhsa_group_segment_fixed_size 0
		.amdhsa_private_segment_fixed_size 0
		.amdhsa_kernarg_size 88
		.amdhsa_user_sgpr_count 6
		.amdhsa_user_sgpr_private_segment_buffer 1
		.amdhsa_user_sgpr_dispatch_ptr 0
		.amdhsa_user_sgpr_queue_ptr 0
		.amdhsa_user_sgpr_kernarg_segment_ptr 1
		.amdhsa_user_sgpr_dispatch_id 0
		.amdhsa_user_sgpr_flat_scratch_init 0
		.amdhsa_user_sgpr_private_segment_size 0
		.amdhsa_wavefront_size32 1
		.amdhsa_uses_dynamic_stack 0
		.amdhsa_system_sgpr_private_segment_wavefront_offset 0
		.amdhsa_system_sgpr_workgroup_id_x 1
		.amdhsa_system_sgpr_workgroup_id_y 0
		.amdhsa_system_sgpr_workgroup_id_z 0
		.amdhsa_system_sgpr_workgroup_info 0
		.amdhsa_system_vgpr_workitem_id 0
		.amdhsa_next_free_vgpr 181
		.amdhsa_next_free_sgpr 36
		.amdhsa_reserve_vcc 1
		.amdhsa_reserve_flat_scratch 0
		.amdhsa_float_round_mode_32 0
		.amdhsa_float_round_mode_16_64 0
		.amdhsa_float_denorm_mode_32 3
		.amdhsa_float_denorm_mode_16_64 3
		.amdhsa_dx10_clamp 1
		.amdhsa_ieee_mode 1
		.amdhsa_fp16_overflow 0
		.amdhsa_workgroup_processor_mode 1
		.amdhsa_memory_ordered 1
		.amdhsa_forward_progress 0
		.amdhsa_shared_vgpr_count 0
		.amdhsa_exception_fp_ieee_invalid_op 0
		.amdhsa_exception_fp_denorm_src 0
		.amdhsa_exception_fp_ieee_div_zero 0
		.amdhsa_exception_fp_ieee_overflow 0
		.amdhsa_exception_fp_ieee_underflow 0
		.amdhsa_exception_fp_ieee_inexact 0
		.amdhsa_exception_int_div_zero 0
	.end_amdhsa_kernel
	.text
.Lfunc_end0:
	.size	fft_rtc_back_len78_factors_6_13_wgs_247_tpt_13_dp_ip_CI_unitstride_sbrr_R2C_dirReg, .Lfunc_end0-fft_rtc_back_len78_factors_6_13_wgs_247_tpt_13_dp_ip_CI_unitstride_sbrr_R2C_dirReg
                                        ; -- End function
	.section	.AMDGPU.csdata,"",@progbits
; Kernel info:
; codeLenInByte = 7332
; NumSgprs: 38
; NumVgprs: 181
; ScratchSize: 0
; MemoryBound: 0
; FloatMode: 240
; IeeeMode: 1
; LDSByteSize: 0 bytes/workgroup (compile time only)
; SGPRBlocks: 4
; VGPRBlocks: 22
; NumSGPRsForWavesPerEU: 38
; NumVGPRsForWavesPerEU: 181
; Occupancy: 5
; WaveLimiterHint : 1
; COMPUTE_PGM_RSRC2:SCRATCH_EN: 0
; COMPUTE_PGM_RSRC2:USER_SGPR: 6
; COMPUTE_PGM_RSRC2:TRAP_HANDLER: 0
; COMPUTE_PGM_RSRC2:TGID_X_EN: 1
; COMPUTE_PGM_RSRC2:TGID_Y_EN: 0
; COMPUTE_PGM_RSRC2:TGID_Z_EN: 0
; COMPUTE_PGM_RSRC2:TIDIG_COMP_CNT: 0
	.text
	.p2alignl 6, 3214868480
	.fill 48, 4, 3214868480
	.type	__hip_cuid_3439474d2dbd28ae,@object ; @__hip_cuid_3439474d2dbd28ae
	.section	.bss,"aw",@nobits
	.globl	__hip_cuid_3439474d2dbd28ae
__hip_cuid_3439474d2dbd28ae:
	.byte	0                               ; 0x0
	.size	__hip_cuid_3439474d2dbd28ae, 1

	.ident	"AMD clang version 19.0.0git (https://github.com/RadeonOpenCompute/llvm-project roc-6.4.0 25133 c7fe45cf4b819c5991fe208aaa96edf142730f1d)"
	.section	".note.GNU-stack","",@progbits
	.addrsig
	.addrsig_sym __hip_cuid_3439474d2dbd28ae
	.amdgpu_metadata
---
amdhsa.kernels:
  - .args:
      - .actual_access:  read_only
        .address_space:  global
        .offset:         0
        .size:           8
        .value_kind:     global_buffer
      - .offset:         8
        .size:           8
        .value_kind:     by_value
      - .actual_access:  read_only
        .address_space:  global
        .offset:         16
        .size:           8
        .value_kind:     global_buffer
      - .actual_access:  read_only
        .address_space:  global
        .offset:         24
        .size:           8
        .value_kind:     global_buffer
      - .offset:         32
        .size:           8
        .value_kind:     by_value
      - .actual_access:  read_only
        .address_space:  global
        .offset:         40
        .size:           8
        .value_kind:     global_buffer
      - .actual_access:  read_only
        .address_space:  global
        .offset:         48
        .size:           8
        .value_kind:     global_buffer
      - .offset:         56
        .size:           4
        .value_kind:     by_value
      - .actual_access:  read_only
        .address_space:  global
        .offset:         64
        .size:           8
        .value_kind:     global_buffer
      - .actual_access:  read_only
        .address_space:  global
        .offset:         72
        .size:           8
        .value_kind:     global_buffer
      - .address_space:  global
        .offset:         80
        .size:           8
        .value_kind:     global_buffer
    .group_segment_fixed_size: 0
    .kernarg_segment_align: 8
    .kernarg_segment_size: 88
    .language:       OpenCL C
    .language_version:
      - 2
      - 0
    .max_flat_workgroup_size: 247
    .name:           fft_rtc_back_len78_factors_6_13_wgs_247_tpt_13_dp_ip_CI_unitstride_sbrr_R2C_dirReg
    .private_segment_fixed_size: 0
    .sgpr_count:     38
    .sgpr_spill_count: 0
    .symbol:         fft_rtc_back_len78_factors_6_13_wgs_247_tpt_13_dp_ip_CI_unitstride_sbrr_R2C_dirReg.kd
    .uniform_work_group_size: 1
    .uses_dynamic_stack: false
    .vgpr_count:     181
    .vgpr_spill_count: 0
    .wavefront_size: 32
    .workgroup_processor_mode: 1
amdhsa.target:   amdgcn-amd-amdhsa--gfx1030
amdhsa.version:
  - 1
  - 2
...

	.end_amdgpu_metadata
